;; amdgpu-corpus repo=zjin-lcf/HeCBench kind=compiled arch=gfx906 opt=O3
	.amdgcn_target "amdgcn-amd-amdhsa--gfx906"
	.amdhsa_code_object_version 6
	.text
	.protected	_Z22add_kernel_interleavedP13INTERLEAVED_TPKS_j ; -- Begin function _Z22add_kernel_interleavedP13INTERLEAVED_TPKS_j
	.globl	_Z22add_kernel_interleavedP13INTERLEAVED_TPKS_j
	.p2align	8
	.type	_Z22add_kernel_interleavedP13INTERLEAVED_TPKS_j,@function
_Z22add_kernel_interleavedP13INTERLEAVED_TPKS_j: ; @_Z22add_kernel_interleavedP13INTERLEAVED_TPKS_j
; %bb.0:
	s_load_dword s0, s[4:5], 0x24
	s_load_dword s1, s[4:5], 0x10
	s_waitcnt lgkmcnt(0)
	s_and_b32 s0, s0, 0xffff
	s_mul_i32 s6, s6, s0
	v_add_u32_e32 v0, s6, v0
	v_cmp_gt_u32_e32 vcc, s1, v0
	s_and_saveexec_b64 s[0:1], vcc
	s_cbranch_execz .LBB0_3
; %bb.1:
	s_load_dwordx4 s[0:3], s[4:5], 0x0
	v_mov_b32_e32 v1, 0
	v_lshlrev_b64 v[18:19], 6, v[0:1]
	s_waitcnt lgkmcnt(0)
	v_mov_b32_e32 v0, s1
	v_add_co_u32_e32 v16, vcc, s0, v18
	v_addc_co_u32_e32 v17, vcc, v0, v19, vcc
	global_load_dwordx4 v[0:3], v[16:17], off
	global_load_dwordx4 v[4:7], v[16:17], off offset:16
	global_load_dwordx4 v[8:11], v[16:17], off offset:32
	;; [unrolled: 1-line block ×3, first 2 shown]
	v_mov_b32_e32 v20, s3
	v_add_co_u32_e32 v18, vcc, s2, v18
	v_addc_co_u32_e32 v19, vcc, v20, v19, vcc
	s_movk_i32 s0, 0x1000
.LBB0_2:                                ; =>This Inner Loop Header: Depth=1
	global_load_dwordx4 v[20:23], v[18:19], off
	global_load_dwordx4 v[24:27], v[18:19], off offset:16
	s_add_i32 s0, s0, -2
	s_cmp_lg_u32 s0, 0
	s_waitcnt vmcnt(1)
	v_add_u32_e32 v0, v0, v20
	v_add_u32_e32 v1, v1, v21
	;; [unrolled: 1-line block ×4, first 2 shown]
	s_waitcnt vmcnt(0)
	v_add_u32_e32 v4, v4, v24
	v_add_u32_e32 v5, v5, v25
	;; [unrolled: 1-line block ×4, first 2 shown]
	global_load_dwordx4 v[20:23], v[18:19], off offset:32
	global_load_dwordx4 v[24:27], v[18:19], off offset:48
	s_waitcnt vmcnt(1)
	v_add_u32_e32 v8, v8, v20
	v_add_u32_e32 v9, v9, v21
	;; [unrolled: 1-line block ×4, first 2 shown]
	s_waitcnt vmcnt(0)
	v_add_u32_e32 v12, v12, v24
	v_add_u32_e32 v13, v13, v25
	;; [unrolled: 1-line block ×4, first 2 shown]
	global_store_dwordx4 v[16:17], v[0:3], off
	global_store_dwordx4 v[16:17], v[4:7], off offset:16
	global_store_dwordx4 v[16:17], v[8:11], off offset:32
	global_store_dwordx4 v[16:17], v[12:15], off offset:48
	global_load_dwordx4 v[20:23], v[18:19], off
	global_load_dwordx4 v[24:27], v[18:19], off offset:16
	s_waitcnt vmcnt(1)
	v_add_u32_e32 v0, v0, v20
	v_add_u32_e32 v1, v1, v21
	;; [unrolled: 1-line block ×4, first 2 shown]
	s_waitcnt vmcnt(0)
	v_add_u32_e32 v4, v4, v24
	v_add_u32_e32 v5, v5, v25
	;; [unrolled: 1-line block ×4, first 2 shown]
	global_load_dwordx4 v[20:23], v[18:19], off offset:32
	global_load_dwordx4 v[24:27], v[18:19], off offset:48
	s_waitcnt vmcnt(1)
	v_add_u32_e32 v8, v8, v20
	v_add_u32_e32 v9, v9, v21
	;; [unrolled: 1-line block ×4, first 2 shown]
	s_waitcnt vmcnt(0)
	v_add_u32_e32 v12, v12, v24
	v_add_u32_e32 v13, v13, v25
	;; [unrolled: 1-line block ×4, first 2 shown]
	global_store_dwordx4 v[16:17], v[0:3], off
	global_store_dwordx4 v[16:17], v[4:7], off offset:16
	global_store_dwordx4 v[16:17], v[8:11], off offset:32
	;; [unrolled: 1-line block ×3, first 2 shown]
	s_cbranch_scc1 .LBB0_2
.LBB0_3:
	s_endpgm
	.section	.rodata,"a",@progbits
	.p2align	6, 0x0
	.amdhsa_kernel _Z22add_kernel_interleavedP13INTERLEAVED_TPKS_j
		.amdhsa_group_segment_fixed_size 0
		.amdhsa_private_segment_fixed_size 0
		.amdhsa_kernarg_size 280
		.amdhsa_user_sgpr_count 6
		.amdhsa_user_sgpr_private_segment_buffer 1
		.amdhsa_user_sgpr_dispatch_ptr 0
		.amdhsa_user_sgpr_queue_ptr 0
		.amdhsa_user_sgpr_kernarg_segment_ptr 1
		.amdhsa_user_sgpr_dispatch_id 0
		.amdhsa_user_sgpr_flat_scratch_init 0
		.amdhsa_user_sgpr_private_segment_size 0
		.amdhsa_uses_dynamic_stack 0
		.amdhsa_system_sgpr_private_segment_wavefront_offset 0
		.amdhsa_system_sgpr_workgroup_id_x 1
		.amdhsa_system_sgpr_workgroup_id_y 0
		.amdhsa_system_sgpr_workgroup_id_z 0
		.amdhsa_system_sgpr_workgroup_info 0
		.amdhsa_system_vgpr_workitem_id 0
		.amdhsa_next_free_vgpr 28
		.amdhsa_next_free_sgpr 7
		.amdhsa_reserve_vcc 1
		.amdhsa_reserve_flat_scratch 0
		.amdhsa_float_round_mode_32 0
		.amdhsa_float_round_mode_16_64 0
		.amdhsa_float_denorm_mode_32 3
		.amdhsa_float_denorm_mode_16_64 3
		.amdhsa_dx10_clamp 1
		.amdhsa_ieee_mode 1
		.amdhsa_fp16_overflow 0
		.amdhsa_exception_fp_ieee_invalid_op 0
		.amdhsa_exception_fp_denorm_src 0
		.amdhsa_exception_fp_ieee_div_zero 0
		.amdhsa_exception_fp_ieee_overflow 0
		.amdhsa_exception_fp_ieee_underflow 0
		.amdhsa_exception_fp_ieee_inexact 0
		.amdhsa_exception_int_div_zero 0
	.end_amdhsa_kernel
	.text
.Lfunc_end0:
	.size	_Z22add_kernel_interleavedP13INTERLEAVED_TPKS_j, .Lfunc_end0-_Z22add_kernel_interleavedP13INTERLEAVED_TPKS_j
                                        ; -- End function
	.set _Z22add_kernel_interleavedP13INTERLEAVED_TPKS_j.num_vgpr, 28
	.set _Z22add_kernel_interleavedP13INTERLEAVED_TPKS_j.num_agpr, 0
	.set _Z22add_kernel_interleavedP13INTERLEAVED_TPKS_j.numbered_sgpr, 7
	.set _Z22add_kernel_interleavedP13INTERLEAVED_TPKS_j.num_named_barrier, 0
	.set _Z22add_kernel_interleavedP13INTERLEAVED_TPKS_j.private_seg_size, 0
	.set _Z22add_kernel_interleavedP13INTERLEAVED_TPKS_j.uses_vcc, 1
	.set _Z22add_kernel_interleavedP13INTERLEAVED_TPKS_j.uses_flat_scratch, 0
	.set _Z22add_kernel_interleavedP13INTERLEAVED_TPKS_j.has_dyn_sized_stack, 0
	.set _Z22add_kernel_interleavedP13INTERLEAVED_TPKS_j.has_recursion, 0
	.set _Z22add_kernel_interleavedP13INTERLEAVED_TPKS_j.has_indirect_call, 0
	.section	.AMDGPU.csdata,"",@progbits
; Kernel info:
; codeLenInByte = 436
; TotalNumSgprs: 11
; NumVgprs: 28
; ScratchSize: 0
; MemoryBound: 1
; FloatMode: 240
; IeeeMode: 1
; LDSByteSize: 0 bytes/workgroup (compile time only)
; SGPRBlocks: 1
; VGPRBlocks: 6
; NumSGPRsForWavesPerEU: 11
; NumVGPRsForWavesPerEU: 28
; Occupancy: 9
; WaveLimiterHint : 0
; COMPUTE_PGM_RSRC2:SCRATCH_EN: 0
; COMPUTE_PGM_RSRC2:USER_SGPR: 6
; COMPUTE_PGM_RSRC2:TRAP_HANDLER: 0
; COMPUTE_PGM_RSRC2:TGID_X_EN: 1
; COMPUTE_PGM_RSRC2:TGID_Y_EN: 0
; COMPUTE_PGM_RSRC2:TGID_Z_EN: 0
; COMPUTE_PGM_RSRC2:TIDIG_COMP_CNT: 0
	.text
	.protected	_Z26add_kernel_non_interleavedP17NON_INTERLEAVED_TPKS_j ; -- Begin function _Z26add_kernel_non_interleavedP17NON_INTERLEAVED_TPKS_j
	.globl	_Z26add_kernel_non_interleavedP17NON_INTERLEAVED_TPKS_j
	.p2align	8
	.type	_Z26add_kernel_non_interleavedP17NON_INTERLEAVED_TPKS_j,@function
_Z26add_kernel_non_interleavedP17NON_INTERLEAVED_TPKS_j: ; @_Z26add_kernel_non_interleavedP17NON_INTERLEAVED_TPKS_j
; %bb.0:
	s_mov_b64 s[66:67], s[2:3]
	s_mov_b64 s[64:65], s[0:1]
	s_load_dword s0, s[4:5], 0x24
	s_load_dword s1, s[4:5], 0x10
	s_add_u32 s64, s64, s7
	s_addc_u32 s65, s65, 0
	s_waitcnt lgkmcnt(0)
	s_and_b32 s0, s0, 0xffff
	s_mul_i32 s6, s6, s0
	v_add_u32_e32 v0, s6, v0
	v_cmp_gt_u32_e32 vcc, s1, v0
	s_and_saveexec_b64 s[0:1], vcc
	s_cbranch_execz .LBB1_3
; %bb.1:
	s_load_dwordx4 s[0:3], s[4:5], 0x0
	v_mov_b32_e32 v1, 0
	v_lshlrev_b64 v[2:3], 2, v[0:1]
	s_waitcnt lgkmcnt(0)
	v_mov_b32_e32 v1, s3
	v_add_co_u32_e32 v0, vcc, s2, v2
	v_addc_co_u32_e32 v1, vcc, v1, v3, vcc
	v_mov_b32_e32 v4, s1
	v_add_co_u32_e32 v2, vcc, s0, v2
	v_addc_co_u32_e32 v3, vcc, v4, v3, vcc
	v_add_co_u32_e32 v22, vcc, 0x4000, v0
	s_mov_b64 s[0:1], vcc
	v_add_co_u32_e32 v25, vcc, 0x4000, v2
	s_mov_b64 s[2:3], vcc
	;; [unrolled: 2-line block ×30, first 2 shown]
	v_add_co_u32_e32 v4, vcc, 0x4000, v2
	v_addc_co_u32_e32 v5, vcc, 0, v3, vcc
	global_load_dword v63, v[4:5], off
	v_add_co_u32_e32 v5, vcc, 0x8000, v2
	v_addc_co_u32_e32 v6, vcc, 0, v3, vcc
	global_load_dword v57, v[5:6], off
	;; [unrolled: 3-line block ×14, first 2 shown]
	v_add_co_u32_e32 v18, vcc, 0x3c000, v2
	v_addc_co_u32_e32 v19, vcc, 0, v3, vcc
	v_mov_b32_e32 v4, v22
	v_addc_co_u32_e64 v5, vcc, 0, v1, s[0:1]
	global_load_dword v17, v[18:19], off
	s_nop 0
	buffer_store_dword v4, off, s[64:67], 0 offset:80 ; 4-byte Folded Spill
	s_nop 0
	buffer_store_dword v5, off, s[64:67], 0 offset:84 ; 4-byte Folded Spill
	v_mov_b32_e32 v4, v25
	v_addc_co_u32_e64 v5, vcc, 0, v3, s[2:3]
	buffer_store_dword v4, off, s[64:67], 0 offset:88 ; 4-byte Folded Spill
	s_nop 0
	buffer_store_dword v5, off, s[64:67], 0 offset:92 ; 4-byte Folded Spill
	v_addc_co_u32_e64 v25, vcc, 0, v1, s[4:5]
	v_mov_b32_e32 v4, v28
	v_addc_co_u32_e64 v5, vcc, 0, v3, s[6:7]
	buffer_store_dword v24, off, s[64:67], 0 offset:96 ; 4-byte Folded Spill
	s_nop 0
	buffer_store_dword v25, off, s[64:67], 0 offset:100 ; 4-byte Folded Spill
	buffer_store_dword v4, off, s[64:67], 0 offset:104 ; 4-byte Folded Spill
	s_nop 0
	buffer_store_dword v5, off, s[64:67], 0 offset:108 ; 4-byte Folded Spill
	v_mov_b32_e32 v4, v31
	v_addc_co_u32_e64 v5, vcc, 0, v1, s[8:9]
	v_addc_co_u32_e64 v31, vcc, 0, v3, s[10:11]
	buffer_store_dword v4, off, s[64:67], 0 offset:112 ; 4-byte Folded Spill
	s_nop 0
	buffer_store_dword v5, off, s[64:67], 0 offset:116 ; 4-byte Folded Spill
	buffer_store_dword v30, off, s[64:67], 0 offset:120 ; 4-byte Folded Spill
	s_nop 0
	buffer_store_dword v31, off, s[64:67], 0 offset:124 ; 4-byte Folded Spill
	s_waitcnt vmcnt(24)
	v_mov_b32_e32 v31, v37
	v_mov_b32_e32 v4, v35
	v_addc_co_u32_e64 v5, vcc, 0, v1, s[12:13]
	v_addc_co_u32_e64 v62, vcc, 0, v3, s[14:15]
	;; [unrolled: 1-line block ×12, first 2 shown]
	v_mov_b32_e32 v16, v57
	v_addc_co_u32_e64 v22, vcc, 0, v1, s[38:39]
	v_addc_co_u32_e64 v57, vcc, 0, v3, s[40:41]
	buffer_store_dword v4, off, s[64:67], 0 offset:128 ; 4-byte Folded Spill
	s_nop 0
	buffer_store_dword v5, off, s[64:67], 0 offset:132 ; 4-byte Folded Spill
	buffer_store_dword v61, off, s[64:67], 0 offset:136 ; 4-byte Folded Spill
	s_nop 0
	buffer_store_dword v62, off, s[64:67], 0 offset:140 ; 4-byte Folded Spill
	;; [unrolled: 3-line block ×10, first 2 shown]
	buffer_store_dword v50, off, s[64:67], 0 ; 4-byte Folded Spill
	s_nop 0
	buffer_store_dword v51, off, s[64:67], 0 offset:4 ; 4-byte Folded Spill
	buffer_store_dword v52, off, s[64:67], 0 offset:208 ; 4-byte Folded Spill
	s_nop 0
	buffer_store_dword v53, off, s[64:67], 0 offset:212 ; 4-byte Folded Spill
	buffer_store_dword v21, off, s[64:67], 0 offset:216 ; 4-byte Folded Spill
	;; [unrolled: 3-line block ×3, first 2 shown]
	s_nop 0
	buffer_store_dword v57, off, s[64:67], 0 offset:228 ; 4-byte Folded Spill
	v_addc_co_u32_e64 v59, vcc, 0, v1, s[42:43]
	v_addc_co_u32_e64 v61, vcc, 0, v3, s[44:45]
	;; [unrolled: 1-line block ×5, first 2 shown]
	buffer_store_dword v58, off, s[64:67], 0 offset:232 ; 4-byte Folded Spill
	s_nop 0
	buffer_store_dword v59, off, s[64:67], 0 offset:236 ; 4-byte Folded Spill
	buffer_store_dword v60, off, s[64:67], 0 offset:240 ; 4-byte Folded Spill
	s_nop 0
	buffer_store_dword v61, off, s[64:67], 0 offset:244 ; 4-byte Folded Spill
	;; [unrolled: 3-line block ×5, first 2 shown]
	v_addc_co_u32_e64 v33, vcc, 0, v3, s[52:53]
	v_addc_co_u32_e64 v30, vcc, 0, v1, s[54:55]
	;; [unrolled: 1-line block ×3, first 2 shown]
	buffer_store_dword v32, off, s[64:67], 0 offset:280 ; 4-byte Folded Spill
	s_nop 0
	buffer_store_dword v33, off, s[64:67], 0 offset:284 ; 4-byte Folded Spill
	buffer_store_dword v29, off, s[64:67], 0 offset:288 ; 4-byte Folded Spill
	s_nop 0
	buffer_store_dword v30, off, s[64:67], 0 offset:292 ; 4-byte Folded Spill
	;; [unrolled: 3-line block ×4, first 2 shown]
	v_addc_co_u32_e64 v21, vcc, 0, v3, s[60:61]
	s_waitcnt vmcnt(62)
	v_mov_b32_e32 v35, v6
	v_mov_b32_e32 v39, v7
	v_mov_b32_e32 v43, v8
	s_waitcnt vmcnt(61)
	v_mov_b32_e32 v8, v14
	v_mov_b32_e32 v51, v10
	v_mov_b32_e32 v59, v12
	;; [unrolled: 4-line block ×3, first 2 shown]
	s_movk_i32 s0, 0x1000
	v_addc_co_u32_e64 v24, vcc, 0, v1, s[58:59]
	buffer_store_dword v23, off, s[64:67], 0 offset:304 ; 4-byte Folded Spill
	s_nop 0
	buffer_store_dword v24, off, s[64:67], 0 offset:308 ; 4-byte Folded Spill
	buffer_store_dword v20, off, s[64:67], 0 offset:16 ; 4-byte Folded Spill
	s_nop 0
	buffer_store_dword v21, off, s[64:67], 0 offset:20 ; 4-byte Folded Spill
	;; [unrolled: 3-line block ×3, first 2 shown]
	global_load_dword v5, v[2:3], off
	buffer_load_dword v21, off, s[64:67], 0 offset:80 ; 4-byte Folded Reload
	buffer_load_dword v22, off, s[64:67], 0 offset:84 ; 4-byte Folded Reload
	;; [unrolled: 1-line block ×32, first 2 shown]
	v_mov_b32_e32 v2, v13
.LBB1_2:                                ; =>This Inner Loop Header: Depth=1
	buffer_load_dword v0, off, s[64:67], 0 offset:8 ; 4-byte Folded Reload
	buffer_load_dword v1, off, s[64:67], 0 offset:12 ; 4-byte Folded Reload
	s_add_i32 s0, s0, -2
	s_cmp_lg_u32 s0, 0
	s_waitcnt vmcnt(0)
	global_load_dword v20, v[0:1], off
	s_waitcnt vmcnt(0)
	v_add_u32_e32 v0, v5, v20
	buffer_store_dword v0, off, s[64:67], 0 offset:28 ; 4-byte Folded Spill
	buffer_load_dword v4, off, s[64:67], 0 offset:248 ; 4-byte Folded Reload
	buffer_load_dword v5, off, s[64:67], 0 offset:252 ; 4-byte Folded Reload
	s_waitcnt vmcnt(0)
	global_store_dword v[4:5], v0, off
	global_load_dword v20, v[21:22], off
	s_waitcnt vmcnt(0)
	v_add_u32_e32 v63, v63, v20
	global_store_dword v[25:26], v63, off
	global_load_dword v20, v[23:24], off
	s_waitcnt vmcnt(0)
	v_add_u32_e32 v16, v16, v20
	global_store_dword v[27:28], v16, off
	global_load_dword v20, v[29:30], off
	s_waitcnt vmcnt(0)
	v_add_u32_e32 v0, v31, v20
	buffer_store_dword v0, off, s[64:67], 0 offset:32 ; 4-byte Folded Spill
	buffer_load_dword v31, off, s[64:67], 0 offset:120 ; 4-byte Folded Reload
	buffer_load_dword v32, off, s[64:67], 0 offset:124 ; 4-byte Folded Reload
	s_waitcnt vmcnt(0)
	global_store_dword v[31:32], v0, off
	global_load_dword v20, v[33:34], off
	s_waitcnt vmcnt(0)
	v_add_u32_e32 v0, v35, v20
	buffer_store_dword v0, off, s[64:67], 0 offset:36 ; 4-byte Folded Spill
	buffer_load_dword v35, off, s[64:67], 0 offset:136 ; 4-byte Folded Reload
	buffer_load_dword v36, off, s[64:67], 0 offset:140 ; 4-byte Folded Reload
	s_waitcnt vmcnt(0)
	global_store_dword v[35:36], v0, off
	global_load_dword v20, v[37:38], off
	s_waitcnt vmcnt(0)
	v_add_u32_e32 v0, v39, v20
	;; [unrolled: 8-line block ×5, first 2 shown]
	buffer_store_dword v0, off, s[64:67], 0 offset:52 ; 4-byte Folded Spill
	buffer_load_dword v51, off, s[64:67], 0 offset:200 ; 4-byte Folded Reload
	buffer_load_dword v52, off, s[64:67], 0 offset:204 ; 4-byte Folded Reload
	s_waitcnt vmcnt(0)
	global_store_dword v[51:52], v0, off
	buffer_load_dword v0, off, s[64:67], 0  ; 4-byte Folded Reload
	s_nop 0
	buffer_load_dword v1, off, s[64:67], 0 offset:4 ; 4-byte Folded Reload
	s_waitcnt vmcnt(0)
	global_load_dword v20, v[0:1], off
	s_waitcnt vmcnt(0)
	v_add_u32_e32 v0, v55, v20
	buffer_store_dword v0, off, s[64:67], 0 offset:56 ; 4-byte Folded Spill
	buffer_load_dword v55, off, s[64:67], 0 offset:208 ; 4-byte Folded Reload
	buffer_load_dword v56, off, s[64:67], 0 offset:212 ; 4-byte Folded Reload
	s_waitcnt vmcnt(0)
	global_store_dword v[55:56], v0, off
	global_load_dword v20, v[57:58], off
	s_waitcnt vmcnt(0)
	v_add_u32_e32 v0, v59, v20
	buffer_store_dword v0, off, s[64:67], 0 offset:60 ; 4-byte Folded Spill
	buffer_load_dword v59, off, s[64:67], 0 offset:224 ; 4-byte Folded Reload
	buffer_load_dword v60, off, s[64:67], 0 offset:228 ; 4-byte Folded Reload
	s_waitcnt vmcnt(0)
	global_store_dword v[59:60], v0, off
	;; [unrolled: 8-line block ×7, first 2 shown]
	buffer_load_dword v0, off, s[64:67], 0 offset:8 ; 4-byte Folded Reload
	s_nop 0
	buffer_load_dword v1, off, s[64:67], 0 offset:12 ; 4-byte Folded Reload
	s_waitcnt vmcnt(0)
	global_load_dword v20, v[0:1], off
	s_nop 0
	buffer_load_dword v0, off, s[64:67], 0 offset:28 ; 4-byte Folded Reload
	s_waitcnt vmcnt(0)
	v_add_u32_e32 v17, v0, v20
	global_store_dword v[4:5], v17, off
	global_load_dword v20, v[21:22], off
	buffer_load_dword v0, off, s[64:67], 0 offset:32 ; 4-byte Folded Reload
	v_mov_b32_e32 v5, v17
	s_waitcnt vmcnt(1)
	v_add_u32_e32 v63, v63, v20
	global_store_dword v[25:26], v63, off
	global_load_dword v20, v[23:24], off
	s_waitcnt vmcnt(0)
	v_add_u32_e32 v16, v16, v20
	global_store_dword v[27:28], v16, off
	global_load_dword v20, v[29:30], off
	s_waitcnt vmcnt(0)
	v_add_u32_e32 v4, v0, v20
	global_store_dword v[31:32], v4, off
	global_load_dword v20, v[33:34], off
	buffer_load_dword v0, off, s[64:67], 0 offset:36 ; 4-byte Folded Reload
	v_mov_b32_e32 v31, v4
	s_waitcnt vmcnt(0)
	v_add_u32_e32 v4, v0, v20
	global_store_dword v[35:36], v4, off
	global_load_dword v20, v[37:38], off
	buffer_load_dword v0, off, s[64:67], 0 offset:40 ; 4-byte Folded Reload
	v_mov_b32_e32 v35, v4
	s_waitcnt vmcnt(0)
	v_add_u32_e32 v4, v0, v20
	global_store_dword v[39:40], v4, off
	global_load_dword v20, v[41:42], off
	;; [unrolled: 6-line block ×4, first 2 shown]
	buffer_load_dword v0, off, s[64:67], 0 offset:52 ; 4-byte Folded Reload
	v_mov_b32_e32 v47, v4
	s_waitcnt vmcnt(0)
	v_add_u32_e32 v4, v0, v20
	global_store_dword v[51:52], v4, off
	buffer_load_dword v0, off, s[64:67], 0  ; 4-byte Folded Reload
	buffer_load_dword v1, off, s[64:67], 0 offset:4 ; 4-byte Folded Reload
	v_mov_b32_e32 v51, v4
	s_waitcnt vmcnt(0)
	global_load_dword v20, v[0:1], off
	s_nop 0
	buffer_load_dword v0, off, s[64:67], 0 offset:56 ; 4-byte Folded Reload
	s_waitcnt vmcnt(0)
	v_add_u32_e32 v0, v0, v20
	global_store_dword v[55:56], v0, off
	v_mov_b32_e32 v55, v0
	global_load_dword v20, v[57:58], off
	buffer_load_dword v0, off, s[64:67], 0 offset:60 ; 4-byte Folded Reload
	s_waitcnt vmcnt(0)
	v_add_u32_e32 v0, v0, v20
	global_store_dword v[59:60], v0, off
	v_mov_b32_e32 v59, v0
	global_load_dword v20, v[61:62], off
	;; [unrolled: 6-line block ×6, first 2 shown]
	buffer_load_dword v0, off, s[64:67], 0 offset:24 ; 4-byte Folded Reload
	s_waitcnt vmcnt(0)
	v_add_u32_e32 v17, v0, v20
	buffer_load_dword v0, off, s[64:67], 0 offset:16 ; 4-byte Folded Reload
	buffer_load_dword v1, off, s[64:67], 0 offset:20 ; 4-byte Folded Reload
	s_waitcnt vmcnt(0)
	global_store_dword v[0:1], v17, off
	s_cbranch_scc1 .LBB1_2
.LBB1_3:
	s_endpgm
	.section	.rodata,"a",@progbits
	.p2align	6, 0x0
	.amdhsa_kernel _Z26add_kernel_non_interleavedP17NON_INTERLEAVED_TPKS_j
		.amdhsa_group_segment_fixed_size 0
		.amdhsa_private_segment_fixed_size 316
		.amdhsa_kernarg_size 280
		.amdhsa_user_sgpr_count 6
		.amdhsa_user_sgpr_private_segment_buffer 1
		.amdhsa_user_sgpr_dispatch_ptr 0
		.amdhsa_user_sgpr_queue_ptr 0
		.amdhsa_user_sgpr_kernarg_segment_ptr 1
		.amdhsa_user_sgpr_dispatch_id 0
		.amdhsa_user_sgpr_flat_scratch_init 0
		.amdhsa_user_sgpr_private_segment_size 0
		.amdhsa_uses_dynamic_stack 0
		.amdhsa_system_sgpr_private_segment_wavefront_offset 1
		.amdhsa_system_sgpr_workgroup_id_x 1
		.amdhsa_system_sgpr_workgroup_id_y 0
		.amdhsa_system_sgpr_workgroup_id_z 0
		.amdhsa_system_sgpr_workgroup_info 0
		.amdhsa_system_vgpr_workitem_id 0
		.amdhsa_next_free_vgpr 64
		.amdhsa_next_free_sgpr 68
		.amdhsa_reserve_vcc 1
		.amdhsa_reserve_flat_scratch 0
		.amdhsa_float_round_mode_32 0
		.amdhsa_float_round_mode_16_64 0
		.amdhsa_float_denorm_mode_32 3
		.amdhsa_float_denorm_mode_16_64 3
		.amdhsa_dx10_clamp 1
		.amdhsa_ieee_mode 1
		.amdhsa_fp16_overflow 0
		.amdhsa_exception_fp_ieee_invalid_op 0
		.amdhsa_exception_fp_denorm_src 0
		.amdhsa_exception_fp_ieee_div_zero 0
		.amdhsa_exception_fp_ieee_overflow 0
		.amdhsa_exception_fp_ieee_underflow 0
		.amdhsa_exception_fp_ieee_inexact 0
		.amdhsa_exception_int_div_zero 0
	.end_amdhsa_kernel
	.text
.Lfunc_end1:
	.size	_Z26add_kernel_non_interleavedP17NON_INTERLEAVED_TPKS_j, .Lfunc_end1-_Z26add_kernel_non_interleavedP17NON_INTERLEAVED_TPKS_j
                                        ; -- End function
	.set _Z26add_kernel_non_interleavedP17NON_INTERLEAVED_TPKS_j.num_vgpr, 64
	.set _Z26add_kernel_non_interleavedP17NON_INTERLEAVED_TPKS_j.num_agpr, 0
	.set _Z26add_kernel_non_interleavedP17NON_INTERLEAVED_TPKS_j.numbered_sgpr, 68
	.set _Z26add_kernel_non_interleavedP17NON_INTERLEAVED_TPKS_j.num_named_barrier, 0
	.set _Z26add_kernel_non_interleavedP17NON_INTERLEAVED_TPKS_j.private_seg_size, 316
	.set _Z26add_kernel_non_interleavedP17NON_INTERLEAVED_TPKS_j.uses_vcc, 1
	.set _Z26add_kernel_non_interleavedP17NON_INTERLEAVED_TPKS_j.uses_flat_scratch, 0
	.set _Z26add_kernel_non_interleavedP17NON_INTERLEAVED_TPKS_j.has_dyn_sized_stack, 0
	.set _Z26add_kernel_non_interleavedP17NON_INTERLEAVED_TPKS_j.has_recursion, 0
	.set _Z26add_kernel_non_interleavedP17NON_INTERLEAVED_TPKS_j.has_indirect_call, 0
	.section	.AMDGPU.csdata,"",@progbits
; Kernel info:
; codeLenInByte = 3464
; TotalNumSgprs: 72
; NumVgprs: 64
; ScratchSize: 316
; MemoryBound: 0
; FloatMode: 240
; IeeeMode: 1
; LDSByteSize: 0 bytes/workgroup (compile time only)
; SGPRBlocks: 8
; VGPRBlocks: 15
; NumSGPRsForWavesPerEU: 72
; NumVGPRsForWavesPerEU: 64
; Occupancy: 4
; WaveLimiterHint : 0
; COMPUTE_PGM_RSRC2:SCRATCH_EN: 1
; COMPUTE_PGM_RSRC2:USER_SGPR: 6
; COMPUTE_PGM_RSRC2:TRAP_HANDLER: 0
; COMPUTE_PGM_RSRC2:TGID_X_EN: 1
; COMPUTE_PGM_RSRC2:TGID_Y_EN: 0
; COMPUTE_PGM_RSRC2:TGID_Z_EN: 0
; COMPUTE_PGM_RSRC2:TIDIG_COMP_CNT: 0
	.section	.AMDGPU.gpr_maximums,"",@progbits
	.set amdgpu.max_num_vgpr, 0
	.set amdgpu.max_num_agpr, 0
	.set amdgpu.max_num_sgpr, 0
	.section	.AMDGPU.csdata,"",@progbits
	.type	__hip_cuid_3d63f6b54afb513a,@object ; @__hip_cuid_3d63f6b54afb513a
	.section	.bss,"aw",@nobits
	.globl	__hip_cuid_3d63f6b54afb513a
__hip_cuid_3d63f6b54afb513a:
	.byte	0                               ; 0x0
	.size	__hip_cuid_3d63f6b54afb513a, 1

	.ident	"AMD clang version 22.0.0git (https://github.com/RadeonOpenCompute/llvm-project roc-7.2.4 26084 f58b06dce1f9c15707c5f808fd002e18c2accf7e)"
	.section	".note.GNU-stack","",@progbits
	.addrsig
	.addrsig_sym __hip_cuid_3d63f6b54afb513a
	.amdgpu_metadata
---
amdhsa.kernels:
  - .args:
      - .address_space:  global
        .offset:         0
        .size:           8
        .value_kind:     global_buffer
      - .address_space:  global
        .offset:         8
        .size:           8
        .value_kind:     global_buffer
      - .offset:         16
        .size:           4
        .value_kind:     by_value
      - .offset:         24
        .size:           4
        .value_kind:     hidden_block_count_x
      - .offset:         28
        .size:           4
        .value_kind:     hidden_block_count_y
      - .offset:         32
        .size:           4
        .value_kind:     hidden_block_count_z
      - .offset:         36
        .size:           2
        .value_kind:     hidden_group_size_x
      - .offset:         38
        .size:           2
        .value_kind:     hidden_group_size_y
      - .offset:         40
        .size:           2
        .value_kind:     hidden_group_size_z
      - .offset:         42
        .size:           2
        .value_kind:     hidden_remainder_x
      - .offset:         44
        .size:           2
        .value_kind:     hidden_remainder_y
      - .offset:         46
        .size:           2
        .value_kind:     hidden_remainder_z
      - .offset:         64
        .size:           8
        .value_kind:     hidden_global_offset_x
      - .offset:         72
        .size:           8
        .value_kind:     hidden_global_offset_y
      - .offset:         80
        .size:           8
        .value_kind:     hidden_global_offset_z
      - .offset:         88
        .size:           2
        .value_kind:     hidden_grid_dims
    .group_segment_fixed_size: 0
    .kernarg_segment_align: 8
    .kernarg_segment_size: 280
    .language:       OpenCL C
    .language_version:
      - 2
      - 0
    .max_flat_workgroup_size: 1024
    .name:           _Z22add_kernel_interleavedP13INTERLEAVED_TPKS_j
    .private_segment_fixed_size: 0
    .sgpr_count:     11
    .sgpr_spill_count: 0
    .symbol:         _Z22add_kernel_interleavedP13INTERLEAVED_TPKS_j.kd
    .uniform_work_group_size: 1
    .uses_dynamic_stack: false
    .vgpr_count:     28
    .vgpr_spill_count: 0
    .wavefront_size: 64
  - .args:
      - .address_space:  global
        .offset:         0
        .size:           8
        .value_kind:     global_buffer
      - .address_space:  global
        .offset:         8
        .size:           8
        .value_kind:     global_buffer
      - .offset:         16
        .size:           4
        .value_kind:     by_value
      - .offset:         24
        .size:           4
        .value_kind:     hidden_block_count_x
      - .offset:         28
        .size:           4
        .value_kind:     hidden_block_count_y
      - .offset:         32
        .size:           4
        .value_kind:     hidden_block_count_z
      - .offset:         36
        .size:           2
        .value_kind:     hidden_group_size_x
      - .offset:         38
        .size:           2
        .value_kind:     hidden_group_size_y
      - .offset:         40
        .size:           2
        .value_kind:     hidden_group_size_z
      - .offset:         42
        .size:           2
        .value_kind:     hidden_remainder_x
      - .offset:         44
        .size:           2
        .value_kind:     hidden_remainder_y
      - .offset:         46
        .size:           2
        .value_kind:     hidden_remainder_z
      - .offset:         64
        .size:           8
        .value_kind:     hidden_global_offset_x
      - .offset:         72
        .size:           8
        .value_kind:     hidden_global_offset_y
      - .offset:         80
        .size:           8
        .value_kind:     hidden_global_offset_z
      - .offset:         88
        .size:           2
        .value_kind:     hidden_grid_dims
    .group_segment_fixed_size: 0
    .kernarg_segment_align: 8
    .kernarg_segment_size: 280
    .language:       OpenCL C
    .language_version:
      - 2
      - 0
    .max_flat_workgroup_size: 1024
    .name:           _Z26add_kernel_non_interleavedP17NON_INTERLEAVED_TPKS_j
    .private_segment_fixed_size: 316
    .sgpr_count:     72
    .sgpr_spill_count: 0
    .symbol:         _Z26add_kernel_non_interleavedP17NON_INTERLEAVED_TPKS_j.kd
    .uniform_work_group_size: 1
    .uses_dynamic_stack: false
    .vgpr_count:     64
    .vgpr_spill_count: 78
    .wavefront_size: 64
amdhsa.target:   amdgcn-amd-amdhsa--gfx906
amdhsa.version:
  - 1
  - 2
...

	.end_amdgpu_metadata
